;; amdgpu-corpus repo=ROCm/rocm-examples kind=compiled arch=gfx950 opt=O3
	.amdgcn_target "amdgcn-amd-amdhsa--gfx950"
	.amdhsa_code_object_version 6
	.text
	.protected	_Z21matrix_multiply_naivePfS_S_iii ; -- Begin function _Z21matrix_multiply_naivePfS_S_iii
	.globl	_Z21matrix_multiply_naivePfS_S_iii
	.p2align	8
	.type	_Z21matrix_multiply_naivePfS_S_iii,@function
_Z21matrix_multiply_naivePfS_S_iii:     ; @_Z21matrix_multiply_naivePfS_S_iii
; %bb.0:
	s_load_dword s8, s[0:1], 0x34
	s_load_dwordx4 s[4:7], s[0:1], 0x18
	v_and_b32_e32 v1, 0x3ff, v0
	v_bfe_u32 v0, v0, 10, 10
	s_waitcnt lgkmcnt(0)
	s_lshr_b32 s7, s8, 16
	s_and_b32 s8, s8, 0xffff
	s_mul_i32 s2, s2, s8
	s_mul_i32 s3, s3, s7
	v_add_u32_e32 v2, s2, v1
	v_add_u32_e32 v3, s3, v0
	v_cmp_gt_i32_e32 vcc, s5, v2
	v_cmp_gt_i32_e64 s[2:3], s4, v3
	s_and_b64 s[2:3], vcc, s[2:3]
	s_and_saveexec_b64 s[8:9], s[2:3]
	s_cbranch_execz .LBB0_6
; %bb.1:
	s_load_dwordx4 s[8:11], s[0:1], 0x0
	s_load_dwordx2 s[2:3], s[0:1], 0x10
	s_cmp_lt_i32 s6, 1
	s_cbranch_scc1 .LBB0_4
; %bb.2:
	v_mul_lo_u32 v4, v3, s6
	s_waitcnt lgkmcnt(0)
	v_mov_b32_e32 v0, s8
	v_mov_b32_e32 v1, s9
	v_ashrrev_i32_e32 v5, 31, v4
	v_lshl_add_u64 v[0:1], v[4:5], 2, v[0:1]
	v_mov_b32_e32 v6, 0
	v_mov_b32_e32 v4, v2
.LBB0_3:                                ; =>This Inner Loop Header: Depth=1
	v_ashrrev_i32_e32 v5, 31, v4
	v_lshl_add_u64 v[8:9], v[4:5], 2, s[10:11]
	global_load_dword v7, v[0:1], off
	global_load_dword v5, v[8:9], off
	s_add_i32 s6, s6, -1
	v_lshl_add_u64 v[0:1], v[0:1], 0, 4
	v_add_u32_e32 v4, s5, v4
	s_cmp_eq_u32 s6, 0
	s_waitcnt vmcnt(0)
	v_fmac_f32_e32 v6, v7, v5
	s_cbranch_scc0 .LBB0_3
	s_branch .LBB0_5
.LBB0_4:
	v_mov_b32_e32 v6, 0
.LBB0_5:
	v_mad_u64_u32 v[2:3], s[0:1], v3, s5, v[2:3]
	s_waitcnt lgkmcnt(0)
	v_mov_b32_e32 v0, s2
	v_mov_b32_e32 v1, s3
	v_ashrrev_i32_e32 v3, 31, v2
	v_lshl_add_u64 v[0:1], v[2:3], 2, v[0:1]
	global_store_dword v[0:1], v6, off
.LBB0_6:
	s_endpgm
	.section	.rodata,"a",@progbits
	.p2align	6, 0x0
	.amdhsa_kernel _Z21matrix_multiply_naivePfS_S_iii
		.amdhsa_group_segment_fixed_size 0
		.amdhsa_private_segment_fixed_size 0
		.amdhsa_kernarg_size 296
		.amdhsa_user_sgpr_count 2
		.amdhsa_user_sgpr_dispatch_ptr 0
		.amdhsa_user_sgpr_queue_ptr 0
		.amdhsa_user_sgpr_kernarg_segment_ptr 1
		.amdhsa_user_sgpr_dispatch_id 0
		.amdhsa_user_sgpr_kernarg_preload_length 0
		.amdhsa_user_sgpr_kernarg_preload_offset 0
		.amdhsa_user_sgpr_private_segment_size 0
		.amdhsa_uses_dynamic_stack 0
		.amdhsa_enable_private_segment 0
		.amdhsa_system_sgpr_workgroup_id_x 1
		.amdhsa_system_sgpr_workgroup_id_y 1
		.amdhsa_system_sgpr_workgroup_id_z 0
		.amdhsa_system_sgpr_workgroup_info 0
		.amdhsa_system_vgpr_workitem_id 1
		.amdhsa_next_free_vgpr 10
		.amdhsa_next_free_sgpr 12
		.amdhsa_accum_offset 12
		.amdhsa_reserve_vcc 1
		.amdhsa_float_round_mode_32 0
		.amdhsa_float_round_mode_16_64 0
		.amdhsa_float_denorm_mode_32 3
		.amdhsa_float_denorm_mode_16_64 3
		.amdhsa_dx10_clamp 1
		.amdhsa_ieee_mode 1
		.amdhsa_fp16_overflow 0
		.amdhsa_tg_split 0
		.amdhsa_exception_fp_ieee_invalid_op 0
		.amdhsa_exception_fp_denorm_src 0
		.amdhsa_exception_fp_ieee_div_zero 0
		.amdhsa_exception_fp_ieee_overflow 0
		.amdhsa_exception_fp_ieee_underflow 0
		.amdhsa_exception_fp_ieee_inexact 0
		.amdhsa_exception_int_div_zero 0
	.end_amdhsa_kernel
	.text
.Lfunc_end0:
	.size	_Z21matrix_multiply_naivePfS_S_iii, .Lfunc_end0-_Z21matrix_multiply_naivePfS_S_iii
                                        ; -- End function
	.set _Z21matrix_multiply_naivePfS_S_iii.num_vgpr, 10
	.set _Z21matrix_multiply_naivePfS_S_iii.num_agpr, 0
	.set _Z21matrix_multiply_naivePfS_S_iii.numbered_sgpr, 12
	.set _Z21matrix_multiply_naivePfS_S_iii.num_named_barrier, 0
	.set _Z21matrix_multiply_naivePfS_S_iii.private_seg_size, 0
	.set _Z21matrix_multiply_naivePfS_S_iii.uses_vcc, 1
	.set _Z21matrix_multiply_naivePfS_S_iii.uses_flat_scratch, 0
	.set _Z21matrix_multiply_naivePfS_S_iii.has_dyn_sized_stack, 0
	.set _Z21matrix_multiply_naivePfS_S_iii.has_recursion, 0
	.set _Z21matrix_multiply_naivePfS_S_iii.has_indirect_call, 0
	.section	.AMDGPU.csdata,"",@progbits
; Kernel info:
; codeLenInByte = 264
; TotalNumSgprs: 18
; NumVgprs: 10
; NumAgprs: 0
; TotalNumVgprs: 10
; ScratchSize: 0
; MemoryBound: 0
; FloatMode: 240
; IeeeMode: 1
; LDSByteSize: 0 bytes/workgroup (compile time only)
; SGPRBlocks: 2
; VGPRBlocks: 1
; NumSGPRsForWavesPerEU: 18
; NumVGPRsForWavesPerEU: 10
; AccumOffset: 12
; Occupancy: 8
; WaveLimiterHint : 0
; COMPUTE_PGM_RSRC2:SCRATCH_EN: 0
; COMPUTE_PGM_RSRC2:USER_SGPR: 2
; COMPUTE_PGM_RSRC2:TRAP_HANDLER: 0
; COMPUTE_PGM_RSRC2:TGID_X_EN: 1
; COMPUTE_PGM_RSRC2:TGID_Y_EN: 1
; COMPUTE_PGM_RSRC2:TGID_Z_EN: 0
; COMPUTE_PGM_RSRC2:TIDIG_COMP_CNT: 1
; COMPUTE_PGM_RSRC3_GFX90A:ACCUM_OFFSET: 2
; COMPUTE_PGM_RSRC3_GFX90A:TG_SPLIT: 0
	.text
	.protected	_Z26matrix_multiply_lds_tilingPfS_S_iii ; -- Begin function _Z26matrix_multiply_lds_tilingPfS_S_iii
	.globl	_Z26matrix_multiply_lds_tilingPfS_S_iii
	.p2align	8
	.type	_Z26matrix_multiply_lds_tilingPfS_S_iii,@function
_Z26matrix_multiply_lds_tilingPfS_S_iii: ; @_Z26matrix_multiply_lds_tilingPfS_S_iii
; %bb.0:
	s_load_dwordx4 s[8:11], s[0:1], 0x0
	s_load_dwordx2 s[12:13], s[0:1], 0x10
	s_load_dwordx4 s[4:7], s[0:1], 0x18
	v_and_b32_e32 v4, 0x3ff, v0
	v_bfe_u32 v5, v0, 10, 10
	s_lshl_b32 s2, s2, 4
	v_lshl_add_u32 v1, s3, 4, v5
	v_add_u32_e32 v0, s2, v4
	s_waitcnt lgkmcnt(0)
	s_cmp_lt_i32 s6, 1
	v_cmp_gt_i32_e32 vcc, s4, v1
	v_cmp_gt_i32_e64 s[0:1], s5, v0
	s_cbranch_scc1 .LBB1_7
; %bb.1:
	v_lshlrev_b32_e32 v6, 6, v5
	v_lshlrev_b32_e32 v2, 2, v4
	s_add_i32 s3, s6, 15
	v_add_u32_e32 v7, v6, v2
	v_add_u32_e32 v9, 0x400, v2
	v_mul_lo_u32 v2, v5, s5
	s_lshr_b32 s7, s3, 4
	v_mul_lo_u32 v8, s6, v1
	v_add_u32_e32 v10, v9, v6
	v_add3_u32 v2, v4, v2, s2
	s_lshl_b32 s14, s5, 4
	v_mov_b32_e32 v11, 0
	s_branch .LBB1_3
.LBB1_2:                                ;   in Loop: Header=BB1_3 Depth=1
	s_or_b64 exec, exec, s[2:3]
	s_waitcnt vmcnt(0)
	ds_write_b32 v10, v3
	s_waitcnt lgkmcnt(0)
	s_barrier
	ds_read2_b32 v[28:29], v9 offset1:16
	ds_read_b128 v[12:15], v6
	ds_read_b128 v[16:19], v6 offset:16
	ds_read2_b32 v[30:31], v9 offset0:32 offset1:48
	ds_read_b128 v[20:23], v6 offset:32
	ds_read_b128 v[24:27], v6 offset:48
	ds_read2_b32 v[32:33], v9 offset0:64 offset1:80
	s_waitcnt lgkmcnt(5)
	v_fmac_f32_e32 v11, v12, v28
	v_fmac_f32_e32 v11, v13, v29
	s_waitcnt lgkmcnt(3)
	v_fmac_f32_e32 v11, v14, v30
	v_fmac_f32_e32 v11, v15, v31
	ds_read2_b32 v[12:13], v9 offset0:96 offset1:112
	s_waitcnt lgkmcnt(1)
	v_pk_mul_f32 v[14:15], v[16:17], v[32:33]
	ds_read2_b32 v[16:17], v9 offset0:224 offset1:240
	v_add_f32_e32 v3, v11, v14
	v_add_f32_e32 v3, v3, v15
	ds_read2_b32 v[14:15], v9 offset0:128 offset1:144
	s_waitcnt lgkmcnt(2)
	v_pk_mul_f32 v[12:13], v[18:19], v[12:13]
	s_add_i32 s7, s7, -1
	v_add_f32_e32 v3, v3, v12
	v_add_f32_e32 v3, v3, v13
	ds_read2_b32 v[12:13], v9 offset0:160 offset1:176
	s_waitcnt lgkmcnt(1)
	v_pk_mul_f32 v[14:15], v[20:21], v[14:15]
	v_add_u32_e32 v4, 16, v4
	v_add_f32_e32 v3, v3, v14
	v_add_f32_e32 v3, v3, v15
	ds_read2_b32 v[14:15], v9 offset0:192 offset1:208
	s_waitcnt lgkmcnt(1)
	v_pk_mul_f32 v[12:13], v[22:23], v[12:13]
	v_add_u32_e32 v2, s14, v2
	v_add_f32_e32 v3, v3, v12
	v_add_f32_e32 v3, v3, v13
	s_waitcnt lgkmcnt(0)
	v_pk_mul_f32 v[12:13], v[24:25], v[14:15]
	s_cmp_eq_u32 s7, 0
	v_add_f32_e32 v3, v3, v12
	v_add_f32_e32 v3, v3, v13
	v_pk_mul_f32 v[12:13], v[26:27], v[16:17]
	v_add_u32_e32 v5, 16, v5
	v_add_f32_e32 v3, v3, v12
	v_add_f32_e32 v11, v3, v13
	s_barrier
	s_cbranch_scc1 .LBB1_8
.LBB1_3:                                ; =>This Inner Loop Header: Depth=1
	v_cmp_gt_i32_e64 s[2:3], s6, v4
	s_and_b64 s[16:17], vcc, s[2:3]
	v_mov_b32_e32 v3, 0
	s_and_saveexec_b64 s[2:3], s[16:17]
	s_cbranch_execz .LBB1_5
; %bb.4:                                ;   in Loop: Header=BB1_3 Depth=1
	v_add_u32_e32 v12, v8, v4
	v_ashrrev_i32_e32 v13, 31, v12
	v_lshl_add_u64 v[12:13], v[12:13], 2, s[8:9]
	global_load_dword v3, v[12:13], off
.LBB1_5:                                ;   in Loop: Header=BB1_3 Depth=1
	s_or_b64 exec, exec, s[2:3]
	v_cmp_gt_i32_e64 s[2:3], s6, v5
	s_waitcnt vmcnt(0)
	ds_write_b32 v7, v3
	s_and_b64 s[16:17], s[0:1], s[2:3]
	v_mov_b32_e32 v3, 0
	s_and_saveexec_b64 s[2:3], s[16:17]
	s_cbranch_execz .LBB1_2
; %bb.6:                                ;   in Loop: Header=BB1_3 Depth=1
	v_ashrrev_i32_e32 v3, 31, v2
	v_lshl_add_u64 v[12:13], v[2:3], 2, s[10:11]
	global_load_dword v3, v[12:13], off
	s_branch .LBB1_2
.LBB1_7:
	v_mov_b32_e32 v11, 0
.LBB1_8:
	v_cmp_gt_i32_e32 vcc, s4, v1
	v_cmp_gt_i32_e64 s[0:1], s5, v0
	s_and_b64 s[0:1], vcc, s[0:1]
	s_and_saveexec_b64 s[2:3], s[0:1]
	s_cbranch_execz .LBB1_10
; %bb.9:
	v_mad_u64_u32 v[0:1], s[0:1], s5, v1, v[0:1]
	v_mov_b32_e32 v2, s12
	v_mov_b32_e32 v3, s13
	v_ashrrev_i32_e32 v1, 31, v0
	v_lshl_add_u64 v[0:1], v[0:1], 2, v[2:3]
	global_store_dword v[0:1], v11, off
.LBB1_10:
	s_endpgm
	.section	.rodata,"a",@progbits
	.p2align	6, 0x0
	.amdhsa_kernel _Z26matrix_multiply_lds_tilingPfS_S_iii
		.amdhsa_group_segment_fixed_size 2048
		.amdhsa_private_segment_fixed_size 0
		.amdhsa_kernarg_size 36
		.amdhsa_user_sgpr_count 2
		.amdhsa_user_sgpr_dispatch_ptr 0
		.amdhsa_user_sgpr_queue_ptr 0
		.amdhsa_user_sgpr_kernarg_segment_ptr 1
		.amdhsa_user_sgpr_dispatch_id 0
		.amdhsa_user_sgpr_kernarg_preload_length 0
		.amdhsa_user_sgpr_kernarg_preload_offset 0
		.amdhsa_user_sgpr_private_segment_size 0
		.amdhsa_uses_dynamic_stack 0
		.amdhsa_enable_private_segment 0
		.amdhsa_system_sgpr_workgroup_id_x 1
		.amdhsa_system_sgpr_workgroup_id_y 1
		.amdhsa_system_sgpr_workgroup_id_z 0
		.amdhsa_system_sgpr_workgroup_info 0
		.amdhsa_system_vgpr_workitem_id 1
		.amdhsa_next_free_vgpr 34
		.amdhsa_next_free_sgpr 18
		.amdhsa_accum_offset 36
		.amdhsa_reserve_vcc 1
		.amdhsa_float_round_mode_32 0
		.amdhsa_float_round_mode_16_64 0
		.amdhsa_float_denorm_mode_32 3
		.amdhsa_float_denorm_mode_16_64 3
		.amdhsa_dx10_clamp 1
		.amdhsa_ieee_mode 1
		.amdhsa_fp16_overflow 0
		.amdhsa_tg_split 0
		.amdhsa_exception_fp_ieee_invalid_op 0
		.amdhsa_exception_fp_denorm_src 0
		.amdhsa_exception_fp_ieee_div_zero 0
		.amdhsa_exception_fp_ieee_overflow 0
		.amdhsa_exception_fp_ieee_underflow 0
		.amdhsa_exception_fp_ieee_inexact 0
		.amdhsa_exception_int_div_zero 0
	.end_amdhsa_kernel
	.text
.Lfunc_end1:
	.size	_Z26matrix_multiply_lds_tilingPfS_S_iii, .Lfunc_end1-_Z26matrix_multiply_lds_tilingPfS_S_iii
                                        ; -- End function
	.set _Z26matrix_multiply_lds_tilingPfS_S_iii.num_vgpr, 34
	.set _Z26matrix_multiply_lds_tilingPfS_S_iii.num_agpr, 0
	.set _Z26matrix_multiply_lds_tilingPfS_S_iii.numbered_sgpr, 18
	.set _Z26matrix_multiply_lds_tilingPfS_S_iii.num_named_barrier, 0
	.set _Z26matrix_multiply_lds_tilingPfS_S_iii.private_seg_size, 0
	.set _Z26matrix_multiply_lds_tilingPfS_S_iii.uses_vcc, 1
	.set _Z26matrix_multiply_lds_tilingPfS_S_iii.uses_flat_scratch, 0
	.set _Z26matrix_multiply_lds_tilingPfS_S_iii.has_dyn_sized_stack, 0
	.set _Z26matrix_multiply_lds_tilingPfS_S_iii.has_recursion, 0
	.set _Z26matrix_multiply_lds_tilingPfS_S_iii.has_indirect_call, 0
	.section	.AMDGPU.csdata,"",@progbits
; Kernel info:
; codeLenInByte = 616
; TotalNumSgprs: 24
; NumVgprs: 34
; NumAgprs: 0
; TotalNumVgprs: 34
; ScratchSize: 0
; MemoryBound: 0
; FloatMode: 240
; IeeeMode: 1
; LDSByteSize: 2048 bytes/workgroup (compile time only)
; SGPRBlocks: 2
; VGPRBlocks: 4
; NumSGPRsForWavesPerEU: 24
; NumVGPRsForWavesPerEU: 34
; AccumOffset: 36
; Occupancy: 8
; WaveLimiterHint : 0
; COMPUTE_PGM_RSRC2:SCRATCH_EN: 0
; COMPUTE_PGM_RSRC2:USER_SGPR: 2
; COMPUTE_PGM_RSRC2:TRAP_HANDLER: 0
; COMPUTE_PGM_RSRC2:TGID_X_EN: 1
; COMPUTE_PGM_RSRC2:TGID_Y_EN: 1
; COMPUTE_PGM_RSRC2:TGID_Z_EN: 0
; COMPUTE_PGM_RSRC2:TIDIG_COMP_CNT: 1
; COMPUTE_PGM_RSRC3_GFX90A:ACCUM_OFFSET: 8
; COMPUTE_PGM_RSRC3_GFX90A:TG_SPLIT: 0
	.text
	.protected	_Z31matrix_multiply_register_tilingPfS_S_iii ; -- Begin function _Z31matrix_multiply_register_tilingPfS_S_iii
	.globl	_Z31matrix_multiply_register_tilingPfS_S_iii
	.p2align	8
	.type	_Z31matrix_multiply_register_tilingPfS_S_iii,@function
_Z31matrix_multiply_register_tilingPfS_S_iii: ; @_Z31matrix_multiply_register_tilingPfS_S_iii
; %bb.0:
	s_load_dword s4, s[0:1], 0x34
	s_load_dwordx4 s[36:39], s[0:1], 0x18
	s_load_dwordx4 s[40:43], s[0:1], 0x0
	s_load_dwordx2 s[44:45], s[0:1], 0x10
	v_and_b32_e32 v1, 0x3ff, v0
	s_waitcnt lgkmcnt(0)
	s_and_b32 s0, s4, 0xffff
	v_bfe_u32 v0, v0, 10, 10
	v_mad_u32_u24 v0, v0, s0, v1
	v_and_b32_e32 v1, 60, v0
	v_lshrrev_b32_e32 v2, 1, v0
	s_mov_b32 s0, 0x3ffffc0
	v_and_or_b32 v41, v2, s0, v1
	v_lshlrev_b32_e32 v2, 2, v0
	v_lshrrev_b32_e32 v1, 2, v0
	v_and_b32_e32 v2, 12, v2
	s_lshl_b32 s33, s3, 7
	s_lshl_b32 s39, s2, 5
	s_cmp_lt_i32 s38, 1
	v_and_or_b32 v64, v1, 16, v2
	s_cbranch_scc1 .LBB2_63
; %bb.1:
	v_and_b32_e32 v2, 31, v0
	v_and_b32_e32 v40, 15, v0
	v_or_b32_e32 v3, s39, v2
	v_lshlrev_b32_e32 v1, 2, v40
	v_mov_b32_e32 v4, 0x2800
	v_cmp_gt_i32_e32 vcc, s37, v3
	s_movk_i32 s34, 0x50
	v_lshrrev_b32_e32 v3, 4, v0
	v_lshl_or_b32 v5, v2, 2, v4
	v_lshl_or_b32 v66, v64, 2, v4
	v_add_u32_e32 v4, s33, v3
	v_mad_u32_u24 v67, v3, s34, v1
	v_add_u32_e32 v3, 0x100, v0
	v_lshrrev_b32_e32 v6, 4, v3
	v_add_u32_e32 v7, s33, v6
	v_mad_u32_u24 v68, v6, s34, v1
	v_add_u32_e32 v6, 0x200, v0
	v_lshrrev_b32_e32 v6, 4, v6
	;; [unrolled: 4-line block ×7, first 2 shown]
	v_add_u32_e32 v13, s33, v6
	v_mul_lo_u32 v65, v41, s34
	v_mad_u32_u24 v74, v6, s34, v1
	v_mad_u64_u32 v[42:43], s[34:35], v13, s38, v[40:41]
	s_add_i32 s0, s38, 15
	s_movk_i32 s2, 0x800
	s_movk_i32 s30, 0x100
	;; [unrolled: 1-line block ×8, first 2 shown]
	v_lshrrev_b32_e32 v75, 5, v0
	v_lshrrev_b32_e32 v77, 5, v3
	v_mov_b32_e32 v43, 0
	s_lshr_b32 s50, s0, 4
	v_cmp_gt_i32_e64 s[0:1], s36, v4
	v_cmp_gt_u32_e64 s[2:3], s2, v0
	v_cmp_gt_i32_e64 s[4:5], s36, v7
	v_cmp_gt_u32_e64 s[6:7], s6, v0
	;; [unrolled: 2-line block ×8, first 2 shown]
	v_lshl_add_u32 v76, v75, 7, v5
	v_lshl_add_u32 v78, v77, 7, v5
	v_mul_lo_u32 v79, s37, v75
	v_add_u32_e32 v80, s39, v2
	s_lshl_b32 s51, s37, 4
	v_mul_lo_u32 v81, s37, v77
	v_mad_u64_u32 v[44:45], s[34:35], v12, s38, v[40:41]
	v_mad_u64_u32 v[46:47], s[34:35], v11, s38, v[40:41]
	;; [unrolled: 1-line block ×7, first 2 shown]
	s_mov_b32 s52, 0
	v_mov_b32_e32 v16, 0
	v_mov_b32_e32 v17, v43
	;; [unrolled: 1-line block ×16, first 2 shown]
	s_branch .LBB2_3
.LBB2_2:                                ;   in Loop: Header=BB2_3 Depth=1
	s_or_b64 exec, exec, s[34:35]
	s_waitcnt lgkmcnt(0)
	s_barrier
	ds_read_b128 v[22:25], v65
	ds_read_b128 v[12:15], v65 offset:16
	ds_read_b128 v[26:29], v65 offset:240
	;; [unrolled: 1-line block ×4, first 2 shown]
	ds_read_b128 v[82:85], v66
	ds_read_b128 v[86:89], v65 offset:160
	ds_read_b128 v[4:7], v65 offset:176
	;; [unrolled: 1-line block ×4, first 2 shown]
	s_waitcnt lgkmcnt(4)
	v_pk_fma_f32 v[20:21], v[26:27], v[82:83], v[20:21] op_sel_hi:[0,1,1]
	v_pk_fma_f32 v[58:59], v[22:23], v[82:83], v[58:59] op_sel_hi:[0,1,1]
	;; [unrolled: 1-line block ×3, first 2 shown]
	s_waitcnt lgkmcnt(3)
	v_pk_fma_f32 v[82:83], v[86:87], v[82:83], v[34:35] op_sel_hi:[0,1,1]
	ds_read_b128 v[34:37], v66 offset:256
	v_pk_fma_f32 v[96:97], v[60:61], v[84:85], v[32:33] op_sel_hi:[0,1,1]
	ds_read_b128 v[30:33], v66 offset:384
	v_pk_fma_f32 v[16:17], v[26:27], v[84:85], v[16:17] op_sel_hi:[0,1,1]
	v_pk_fma_f32 v[38:39], v[22:23], v[84:85], v[38:39] op_sel_hi:[0,1,1]
	s_waitcnt lgkmcnt(2)
	v_pk_fma_f32 v[16:17], v[26:27], v[92:93], v[16:17] op_sel:[1,0,0]
	v_pk_fma_f32 v[20:21], v[26:27], v[90:91], v[20:21] op_sel:[1,0,0]
	s_waitcnt lgkmcnt(1)
	v_pk_fma_f32 v[26:27], v[28:29], v[36:37], v[16:17] op_sel_hi:[0,1,1]
	v_pk_fma_f32 v[16:17], v[22:23], v[90:91], v[58:59] op_sel:[1,0,0]
	v_pk_fma_f32 v[22:23], v[22:23], v[92:93], v[38:39] op_sel:[1,0,0]
	v_pk_fma_f32 v[18:19], v[86:87], v[84:85], v[18:19] op_sel_hi:[0,1,1]
	v_pk_fma_f32 v[20:21], v[28:29], v[34:35], v[20:21] op_sel_hi:[0,1,1]
	v_mov_b32_e32 v28, v29
	v_pk_fma_f32 v[38:39], v[24:25], v[36:37], v[22:23] op_sel_hi:[0,1,1]
	v_pk_fma_f32 v[22:23], v[60:61], v[90:91], v[94:95] op_sel:[1,0,0]
	v_pk_fma_f32 v[58:59], v[86:87], v[90:91], v[82:83] op_sel:[1,0,0]
	;; [unrolled: 1-line block ×3, first 2 shown]
	ds_read_b128 v[82:85], v65 offset:32
	s_waitcnt lgkmcnt(1)
	v_pk_fma_f32 v[86:87], v[28:29], v[30:31], v[20:21] op_sel_hi:[0,1,1]
	v_pk_fma_f32 v[90:91], v[62:63], v[34:35], v[22:23] op_sel_hi:[0,1,1]
	ds_read_b128 v[20:23], v66 offset:512
	v_pk_fma_f32 v[16:17], v[24:25], v[34:35], v[16:17] op_sel_hi:[0,1,1]
	v_mov_b32_e32 v24, v25
	v_pk_fma_f32 v[60:61], v[60:61], v[92:93], v[96:97] op_sel:[1,0,0]
	v_pk_fma_f32 v[34:35], v[88:89], v[34:35], v[58:59] op_sel_hi:[0,1,1]
	v_pk_fma_f32 v[60:61], v[62:63], v[36:37], v[60:61] op_sel_hi:[0,1,1]
	;; [unrolled: 1-line block ×4, first 2 shown]
	v_mov_b32_e32 v88, v63
	v_mov_b32_e32 v92, v89
	ds_read_b128 v[16:19], v66 offset:640
	s_waitcnt lgkmcnt(1)
	v_pk_fma_f32 v[94:95], v[12:13], v[20:21], v[58:59] op_sel_hi:[0,1,1]
	v_pk_fma_f32 v[58:59], v[88:89], v[30:31], v[90:91] op_sel_hi:[0,1,1]
	;; [unrolled: 1-line block ×11, first 2 shown]
	ds_read_b128 v[32:35], v66 offset:768
	ds_read_b128 v[36:39], v66 offset:896
	v_pk_fma_f32 v[24:25], v[12:13], v[22:23], v[24:25] op_sel_hi:[0,1,1]
	v_pk_fma_f32 v[60:61], v[0:1], v[22:23], v[20:21] op_sel_hi:[0,1,1]
	s_waitcnt lgkmcnt(2)
	v_pk_fma_f32 v[20:21], v[12:13], v[16:17], v[94:95] op_sel:[1,0,0]
	v_pk_fma_f32 v[12:13], v[12:13], v[18:19], v[24:25] op_sel:[1,0,0]
	v_pk_fma_f32 v[92:93], v[4:5], v[22:23], v[26:27] op_sel_hi:[0,1,1]
	s_waitcnt lgkmcnt(1)
	v_pk_fma_f32 v[20:21], v[14:15], v[32:33], v[20:21] op_sel_hi:[0,1,1]
	v_mov_b32_e32 v22, v15
	v_pk_fma_f32 v[28:29], v[14:15], v[34:35], v[12:13] op_sel_hi:[0,1,1]
	ds_read_b128 v[24:27], v66 offset:1024
	ds_read_b128 v[12:15], v66 offset:1152
	s_waitcnt lgkmcnt(2)
	v_pk_fma_f32 v[30:31], v[22:23], v[36:37], v[20:21] op_sel_hi:[0,1,1]
	v_pk_fma_f32 v[94:95], v[22:23], v[38:39], v[28:29] op_sel_hi:[0,1,1]
	v_pk_fma_f32 v[90:91], v[8:9], v[16:17], v[90:91] op_sel:[1,0,0]
	v_pk_fma_f32 v[8:9], v[8:9], v[18:19], v[96:97] op_sel:[1,0,0]
	s_waitcnt lgkmcnt(1)
	v_pk_fma_f32 v[28:29], v[82:83], v[24:25], v[30:31] op_sel_hi:[0,1,1]
	v_pk_fma_f32 v[94:95], v[82:83], v[26:27], v[94:95] op_sel_hi:[0,1,1]
	;; [unrolled: 1-line block ×4, first 2 shown]
	v_mov_b32_e32 v10, v11
	ds_read_b128 v[20:23], v66 offset:1280
	ds_read_b128 v[86:89], v65 offset:48
	s_waitcnt lgkmcnt(2)
	v_pk_fma_f32 v[98:99], v[82:83], v[12:13], v[28:29] op_sel:[1,0,0]
	ds_read_b128 v[28:31], v66 offset:1408
	v_pk_fma_f32 v[82:83], v[82:83], v[14:15], v[94:95] op_sel:[1,0,0]
	v_pk_fma_f32 v[94:95], v[10:11], v[38:39], v[8:9] op_sel_hi:[0,1,1]
	v_pk_fma_f32 v[8:9], v[4:5], v[16:17], v[62:63] op_sel:[1,0,0]
	v_pk_fma_f32 v[4:5], v[4:5], v[18:19], v[92:93] op_sel:[1,0,0]
	v_pk_fma_f32 v[90:91], v[10:11], v[36:37], v[90:91] op_sel_hi:[0,1,1]
	v_pk_fma_f32 v[8:9], v[6:7], v[32:33], v[8:9] op_sel_hi:[0,1,1]
	;; [unrolled: 1-line block ×3, first 2 shown]
	v_mov_b32_e32 v62, v7
	v_pk_fma_f32 v[16:17], v[0:1], v[16:17], v[58:59] op_sel:[1,0,0]
	v_pk_fma_f32 v[0:1], v[0:1], v[18:19], v[60:61] op_sel:[1,0,0]
	ds_read_b128 v[4:7], v65 offset:112
	v_pk_fma_f32 v[92:93], v[62:63], v[36:37], v[8:9] op_sel_hi:[0,1,1]
	v_pk_fma_f32 v[96:97], v[62:63], v[38:39], v[10:11] op_sel_hi:[0,1,1]
	;; [unrolled: 1-line block ×3, first 2 shown]
	v_mov_b32_e32 v32, v3
	v_pk_fma_f32 v[34:35], v[2:3], v[34:35], v[0:1] op_sel_hi:[0,1,1]
	ds_read_b128 v[0:3], v66 offset:1536
	ds_read_b128 v[8:11], v66 offset:1664
	s_waitcnt lgkmcnt(5)
	v_pk_fma_f32 v[98:99], v[84:85], v[20:21], v[98:99] op_sel_hi:[0,1,1]
	v_pk_fma_f32 v[82:83], v[84:85], v[22:23], v[82:83] op_sel_hi:[0,1,1]
	v_mov_b32_e32 v84, v85
	s_waitcnt lgkmcnt(3)
	v_pk_fma_f32 v[18:19], v[84:85], v[28:29], v[98:99] op_sel_hi:[0,1,1]
	ds_read_b128 v[60:63], v66 offset:1792
	v_pk_fma_f32 v[98:99], v[32:33], v[36:37], v[16:17] op_sel_hi:[0,1,1]
	s_waitcnt lgkmcnt(2)
	v_pk_fma_f32 v[16:17], v[86:87], v[0:1], v[18:19] op_sel_hi:[0,1,1]
	v_pk_fma_f32 v[18:19], v[84:85], v[30:31], v[82:83] op_sel_hi:[0,1,1]
	ds_read_b128 v[82:85], v66 offset:1920
	v_pk_fma_f32 v[18:19], v[86:87], v[2:3], v[18:19] op_sel_hi:[0,1,1]
	s_waitcnt lgkmcnt(2)
	v_pk_fma_f32 v[16:17], v[86:87], v[8:9], v[16:17] op_sel:[1,0,0]
	v_pk_fma_f32 v[18:19], v[86:87], v[10:11], v[18:19] op_sel:[1,0,0]
	v_pk_fma_f32 v[100:101], v[32:33], v[38:39], v[34:35] op_sel_hi:[0,1,1]
	s_waitcnt lgkmcnt(1)
	v_pk_fma_f32 v[16:17], v[88:89], v[60:61], v[16:17] op_sel_hi:[0,1,1]
	v_pk_fma_f32 v[18:19], v[88:89], v[62:63], v[18:19] op_sel_hi:[0,1,1]
	v_mov_b32_e32 v32, v89
	s_waitcnt lgkmcnt(0)
	v_pk_fma_f32 v[58:59], v[32:33], v[82:83], v[16:17] op_sel_hi:[0,1,1]
	v_pk_fma_f32 v[38:39], v[32:33], v[84:85], v[18:19] op_sel_hi:[0,1,1]
	ds_read_b128 v[16:19], v65 offset:128
	v_pk_fma_f32 v[32:33], v[4:5], v[24:25], v[90:91] op_sel_hi:[0,1,1]
	v_pk_fma_f32 v[34:35], v[4:5], v[26:27], v[94:95] op_sel_hi:[0,1,1]
	v_pk_fma_f32 v[32:33], v[4:5], v[12:13], v[32:33] op_sel:[1,0,0]
	v_pk_fma_f32 v[4:5], v[4:5], v[14:15], v[34:35] op_sel:[1,0,0]
	v_pk_fma_f32 v[32:33], v[6:7], v[20:21], v[32:33] op_sel_hi:[0,1,1]
	v_pk_fma_f32 v[4:5], v[6:7], v[22:23], v[4:5] op_sel_hi:[0,1,1]
	v_mov_b32_e32 v6, v7
	v_pk_fma_f32 v[32:33], v[6:7], v[28:29], v[32:33] op_sel_hi:[0,1,1]
	v_pk_fma_f32 v[34:35], v[6:7], v[30:31], v[4:5] op_sel_hi:[0,1,1]
	ds_read_b128 v[4:7], v65 offset:192
	s_waitcnt lgkmcnt(1)
	v_pk_fma_f32 v[32:33], v[16:17], v[0:1], v[32:33] op_sel_hi:[0,1,1]
	v_pk_fma_f32 v[34:35], v[16:17], v[2:3], v[34:35] op_sel_hi:[0,1,1]
	v_pk_fma_f32 v[32:33], v[16:17], v[8:9], v[32:33] op_sel:[1,0,0]
	v_pk_fma_f32 v[16:17], v[16:17], v[10:11], v[34:35] op_sel:[1,0,0]
	v_pk_fma_f32 v[32:33], v[18:19], v[60:61], v[32:33] op_sel_hi:[0,1,1]
	v_pk_fma_f32 v[16:17], v[18:19], v[62:63], v[16:17] op_sel_hi:[0,1,1]
	v_mov_b32_e32 v18, v19
	v_pk_fma_f32 v[36:37], v[18:19], v[82:83], v[32:33] op_sel_hi:[0,1,1]
	v_pk_fma_f32 v[32:33], v[18:19], v[84:85], v[16:17] op_sel_hi:[0,1,1]
	ds_read_b128 v[16:19], v65 offset:208
	s_waitcnt lgkmcnt(1)
	v_pk_fma_f32 v[34:35], v[4:5], v[24:25], v[92:93] op_sel_hi:[0,1,1]
	v_pk_fma_f32 v[86:87], v[4:5], v[26:27], v[96:97] op_sel_hi:[0,1,1]
	v_pk_fma_f32 v[34:35], v[4:5], v[12:13], v[34:35] op_sel:[1,0,0]
	v_pk_fma_f32 v[4:5], v[4:5], v[14:15], v[86:87] op_sel:[1,0,0]
	v_pk_fma_f32 v[34:35], v[6:7], v[20:21], v[34:35] op_sel_hi:[0,1,1]
	v_pk_fma_f32 v[4:5], v[6:7], v[22:23], v[4:5] op_sel_hi:[0,1,1]
	v_mov_b32_e32 v6, v7
	v_pk_fma_f32 v[34:35], v[6:7], v[28:29], v[34:35] op_sel_hi:[0,1,1]
	v_pk_fma_f32 v[86:87], v[6:7], v[30:31], v[4:5] op_sel_hi:[0,1,1]
	ds_read_b128 v[4:7], v65 offset:272
	s_waitcnt lgkmcnt(1)
	v_pk_fma_f32 v[34:35], v[16:17], v[0:1], v[34:35] op_sel_hi:[0,1,1]
	v_pk_fma_f32 v[86:87], v[16:17], v[2:3], v[86:87] op_sel_hi:[0,1,1]
	v_pk_fma_f32 v[34:35], v[16:17], v[8:9], v[34:35] op_sel:[1,0,0]
	v_pk_fma_f32 v[16:17], v[16:17], v[10:11], v[86:87] op_sel:[1,0,0]
	v_pk_fma_f32 v[34:35], v[18:19], v[60:61], v[34:35] op_sel_hi:[0,1,1]
	v_pk_fma_f32 v[16:17], v[18:19], v[62:63], v[16:17] op_sel_hi:[0,1,1]
	v_mov_b32_e32 v18, v19
	ds_read_b128 v[86:89], v65 offset:288
	v_pk_fma_f32 v[34:35], v[18:19], v[82:83], v[34:35] op_sel_hi:[0,1,1]
	v_pk_fma_f32 v[18:19], v[18:19], v[84:85], v[16:17] op_sel_hi:[0,1,1]
	s_waitcnt lgkmcnt(1)
	v_pk_fma_f32 v[16:17], v[4:5], v[24:25], v[98:99] op_sel_hi:[0,1,1]
	v_pk_fma_f32 v[12:13], v[4:5], v[12:13], v[16:17] op_sel:[1,0,0]
	v_mov_b32_e32 v24, v7
	v_pk_fma_f32 v[12:13], v[6:7], v[20:21], v[12:13] op_sel_hi:[0,1,1]
	v_pk_fma_f32 v[12:13], v[24:25], v[28:29], v[12:13] op_sel_hi:[0,1,1]
	s_waitcnt lgkmcnt(0)
	v_pk_fma_f32 v[0:1], v[86:87], v[0:1], v[12:13] op_sel_hi:[0,1,1]
	v_pk_fma_f32 v[0:1], v[86:87], v[8:9], v[0:1] op_sel:[1,0,0]
	v_pk_fma_f32 v[16:17], v[4:5], v[26:27], v[100:101] op_sel_hi:[0,1,1]
	v_pk_fma_f32 v[0:1], v[88:89], v[60:61], v[0:1] op_sel_hi:[0,1,1]
	v_mov_b32_e32 v8, v89
	v_pk_fma_f32 v[20:21], v[8:9], v[82:83], v[0:1] op_sel_hi:[0,1,1]
	v_pk_fma_f32 v[0:1], v[4:5], v[14:15], v[16:17] op_sel:[1,0,0]
	s_add_i32 s50, s50, -1
	v_pk_fma_f32 v[0:1], v[6:7], v[22:23], v[0:1] op_sel_hi:[0,1,1]
	v_pk_fma_f32 v[0:1], v[24:25], v[30:31], v[0:1] op_sel_hi:[0,1,1]
	;; [unrolled: 1-line block ×3, first 2 shown]
	v_pk_fma_f32 v[0:1], v[86:87], v[10:11], v[0:1] op_sel:[1,0,0]
	s_add_i32 s52, s52, 16
	v_pk_fma_f32 v[0:1], v[88:89], v[62:63], v[0:1] op_sel_hi:[0,1,1]
	v_pk_fma_f32 v[16:17], v[8:9], v[84:85], v[0:1] op_sel_hi:[0,1,1]
	s_cmp_eq_u32 s50, 0
	v_add_u32_e32 v80, s51, v80
	s_barrier
	s_cbranch_scc1 .LBB2_64
.LBB2_3:                                ; =>This Inner Loop Header: Depth=1
	v_add_u32_e32 v0, s52, v40
	v_cmp_gt_i32_e64 s[34:35], s38, v0
	s_and_b64 s[46:47], s[0:1], s[34:35]
	s_and_b64 s[46:47], s[46:47], s[2:3]
	s_xor_b64 s[46:47], s[46:47], -1
	s_and_saveexec_b64 s[48:49], s[46:47]
	s_xor_b64 s[46:47], exec, s[48:49]
	s_cbranch_execz .LBB2_7
; %bb.4:                                ;   in Loop: Header=BB2_3 Depth=1
	s_and_saveexec_b64 s[48:49], s[2:3]
; %bb.5:                                ;   in Loop: Header=BB2_3 Depth=1
	ds_write_b32 v67, v43
; %bb.6:                                ;   in Loop: Header=BB2_3 Depth=1
	s_or_b64 exec, exec, s[48:49]
.LBB2_7:                                ;   in Loop: Header=BB2_3 Depth=1
	s_andn2_saveexec_b64 s[46:47], s[46:47]
	s_cbranch_execz .LBB2_9
; %bb.8:                                ;   in Loop: Header=BB2_3 Depth=1
	v_add_u32_e32 v0, s52, v56
	v_ashrrev_i32_e32 v1, 31, v0
	v_lshl_add_u64 v[0:1], v[0:1], 2, s[40:41]
	global_load_dword v0, v[0:1], off
	s_waitcnt vmcnt(0)
	ds_write_b32 v67, v0
.LBB2_9:                                ;   in Loop: Header=BB2_3 Depth=1
	s_or_b64 exec, exec, s[46:47]
	s_and_b64 s[46:47], s[4:5], s[34:35]
	s_and_b64 s[46:47], s[46:47], s[6:7]
	s_xor_b64 s[46:47], s[46:47], -1
	s_and_saveexec_b64 s[48:49], s[46:47]
	s_xor_b64 s[46:47], exec, s[48:49]
	s_cbranch_execz .LBB2_13
; %bb.10:                               ;   in Loop: Header=BB2_3 Depth=1
	s_and_saveexec_b64 s[48:49], s[6:7]
; %bb.11:                               ;   in Loop: Header=BB2_3 Depth=1
	ds_write_b32 v68, v43
; %bb.12:                               ;   in Loop: Header=BB2_3 Depth=1
	s_or_b64 exec, exec, s[48:49]
.LBB2_13:                               ;   in Loop: Header=BB2_3 Depth=1
	s_andn2_saveexec_b64 s[46:47], s[46:47]
	s_cbranch_execz .LBB2_15
; %bb.14:                               ;   in Loop: Header=BB2_3 Depth=1
	v_add_u32_e32 v0, s52, v54
	v_ashrrev_i32_e32 v1, 31, v0
	v_lshl_add_u64 v[0:1], v[0:1], 2, s[40:41]
	global_load_dword v0, v[0:1], off
	s_waitcnt vmcnt(0)
	ds_write_b32 v68, v0
.LBB2_15:                               ;   in Loop: Header=BB2_3 Depth=1
	s_or_b64 exec, exec, s[46:47]
	s_and_b64 s[46:47], s[8:9], s[34:35]
	s_and_b64 s[46:47], s[46:47], s[10:11]
	s_xor_b64 s[46:47], s[46:47], -1
	s_and_saveexec_b64 s[48:49], s[46:47]
	s_xor_b64 s[46:47], exec, s[48:49]
	s_cbranch_execz .LBB2_19
; %bb.16:                               ;   in Loop: Header=BB2_3 Depth=1
	s_and_saveexec_b64 s[48:49], s[10:11]
; %bb.17:                               ;   in Loop: Header=BB2_3 Depth=1
	ds_write_b32 v69, v43
; %bb.18:                               ;   in Loop: Header=BB2_3 Depth=1
	s_or_b64 exec, exec, s[48:49]
.LBB2_19:                               ;   in Loop: Header=BB2_3 Depth=1
	s_andn2_saveexec_b64 s[46:47], s[46:47]
	s_cbranch_execz .LBB2_21
; %bb.20:                               ;   in Loop: Header=BB2_3 Depth=1
	v_add_u32_e32 v0, s52, v52
	v_ashrrev_i32_e32 v1, 31, v0
	v_lshl_add_u64 v[0:1], v[0:1], 2, s[40:41]
	global_load_dword v0, v[0:1], off
	s_waitcnt vmcnt(0)
	ds_write_b32 v69, v0
.LBB2_21:                               ;   in Loop: Header=BB2_3 Depth=1
	;; [unrolled: 24-line block ×7, first 2 shown]
	s_or_b64 exec, exec, s[34:35]
	v_add_u32_e32 v0, s52, v75
	v_cmp_gt_i32_e64 s[34:35], s38, v0
	s_and_b64 s[34:35], s[34:35], vcc
	s_and_b64 s[34:35], s[34:35], s[26:27]
	s_xor_b64 s[34:35], s[34:35], -1
	s_and_saveexec_b64 s[46:47], s[34:35]
	s_xor_b64 s[34:35], exec, s[46:47]
	s_cbranch_execz .LBB2_55
; %bb.52:                               ;   in Loop: Header=BB2_3 Depth=1
	s_and_saveexec_b64 s[46:47], s[26:27]
; %bb.53:                               ;   in Loop: Header=BB2_3 Depth=1
	ds_write_b32 v76, v43
; %bb.54:                               ;   in Loop: Header=BB2_3 Depth=1
	s_or_b64 exec, exec, s[46:47]
.LBB2_55:                               ;   in Loop: Header=BB2_3 Depth=1
	s_andn2_saveexec_b64 s[34:35], s[34:35]
	s_cbranch_execz .LBB2_57
; %bb.56:                               ;   in Loop: Header=BB2_3 Depth=1
	v_add_u32_e32 v0, v79, v80
	v_ashrrev_i32_e32 v1, 31, v0
	v_lshl_add_u64 v[0:1], v[0:1], 2, s[42:43]
	global_load_dword v0, v[0:1], off
	s_waitcnt vmcnt(0)
	ds_write_b32 v76, v0
.LBB2_57:                               ;   in Loop: Header=BB2_3 Depth=1
	s_or_b64 exec, exec, s[34:35]
	v_add_u32_e32 v0, s52, v77
	v_cmp_gt_i32_e64 s[34:35], s38, v0
	s_and_b64 s[34:35], s[34:35], vcc
	s_and_b64 s[34:35], s[34:35], s[30:31]
	s_xor_b64 s[34:35], s[34:35], -1
	s_and_saveexec_b64 s[46:47], s[34:35]
	s_xor_b64 s[34:35], exec, s[46:47]
	s_cbranch_execz .LBB2_61
; %bb.58:                               ;   in Loop: Header=BB2_3 Depth=1
	s_and_saveexec_b64 s[46:47], s[30:31]
; %bb.59:                               ;   in Loop: Header=BB2_3 Depth=1
	ds_write_b32 v78, v43
; %bb.60:                               ;   in Loop: Header=BB2_3 Depth=1
	s_or_b64 exec, exec, s[46:47]
.LBB2_61:                               ;   in Loop: Header=BB2_3 Depth=1
	s_andn2_saveexec_b64 s[34:35], s[34:35]
	s_cbranch_execz .LBB2_2
; %bb.62:                               ;   in Loop: Header=BB2_3 Depth=1
	v_add_u32_e32 v0, v81, v80
	v_ashrrev_i32_e32 v1, 31, v0
	v_lshl_add_u64 v[0:1], v[0:1], 2, s[42:43]
	global_load_dword v0, v[0:1], off
	s_waitcnt vmcnt(0)
	ds_write_b32 v78, v0
	s_branch .LBB2_2
.LBB2_63:
	v_mov_b32_e32 v17, 0
	v_mov_b32_e32 v16, v17
	;; [unrolled: 1-line block ×16, first 2 shown]
.LBB2_64:
	v_add_u32_e32 v4, s33, v41
	v_or_b32_e32 v0, s39, v64
	v_cmp_gt_i32_e64 s[6:7], s36, v4
	v_cmp_gt_i32_e32 vcc, s37, v0
	v_mul_lo_u32 v2, v4, s37
	s_and_b64 s[2:3], s[6:7], vcc
	s_and_saveexec_b64 s[0:1], s[2:3]
	s_cbranch_execz .LBB2_66
; %bb.65:
	v_add_u32_e32 v6, v0, v2
	v_ashrrev_i32_e32 v7, 31, v6
	v_lshl_add_u64 v[6:7], v[6:7], 2, s[44:45]
	global_store_dword v[6:7], v58, off
.LBB2_66:
	s_or_b64 exec, exec, s[0:1]
	v_or_b32_e32 v1, 1, v0
	v_cmp_gt_i32_e64 s[0:1], s37, v1
	s_and_b64 s[4:5], s[6:7], s[0:1]
	s_and_saveexec_b64 s[2:3], s[4:5]
	s_cbranch_execz .LBB2_68
; %bb.67:
	v_ashrrev_i32_e32 v3, 31, v2
	v_ashrrev_i32_e32 v1, 31, v0
	v_lshl_add_u64 v[6:7], v[0:1], 0, v[2:3]
	v_lshl_add_u64 v[6:7], v[6:7], 2, s[44:45]
	global_store_dword v[6:7], v59, off offset:4
.LBB2_68:
	s_or_b64 exec, exec, s[2:3]
	v_or_b32_e32 v1, 2, v0
	v_cmp_gt_i32_e64 s[2:3], s37, v1
	s_and_b64 s[8:9], s[6:7], s[2:3]
	s_and_saveexec_b64 s[4:5], s[8:9]
	s_cbranch_execz .LBB2_70
; %bb.69:
	v_ashrrev_i32_e32 v3, 31, v2
	v_ashrrev_i32_e32 v1, 31, v0
	v_lshl_add_u64 v[6:7], v[0:1], 0, v[2:3]
	v_lshl_add_u64 v[6:7], v[6:7], 2, s[44:45]
	global_store_dword v[6:7], v38, off offset:8
.LBB2_70:
	;; [unrolled: 13-line block ×3, first 2 shown]
	s_or_b64 exec, exec, s[6:7]
	v_or_b32_e32 v1, 1, v4
	v_cmp_gt_i32_e64 s[6:7], s36, v1
	v_add_u32_e32 v2, s37, v2
	s_and_b64 s[10:11], s[6:7], vcc
	s_and_saveexec_b64 s[8:9], s[10:11]
	s_cbranch_execnz .LBB2_87
; %bb.73:
	s_or_b64 exec, exec, s[8:9]
	s_and_b64 s[10:11], s[6:7], s[0:1]
	s_and_saveexec_b64 s[8:9], s[10:11]
	s_cbranch_execnz .LBB2_88
.LBB2_74:
	s_or_b64 exec, exec, s[8:9]
	s_and_b64 s[10:11], s[6:7], s[2:3]
	s_and_saveexec_b64 s[8:9], s[10:11]
	s_cbranch_execnz .LBB2_89
.LBB2_75:
	s_or_b64 exec, exec, s[8:9]
	s_and_b64 s[8:9], s[6:7], s[4:5]
	s_and_saveexec_b64 s[6:7], s[8:9]
	s_cbranch_execz .LBB2_77
.LBB2_76:
	v_ashrrev_i32_e32 v3, 31, v2
	v_ashrrev_i32_e32 v1, 31, v0
	v_lshl_add_u64 v[6:7], v[0:1], 0, v[2:3]
	v_lshl_add_u64 v[6:7], v[6:7], 2, s[44:45]
	global_store_dword v[6:7], v33, off offset:12
.LBB2_77:
	s_or_b64 exec, exec, s[6:7]
	v_or_b32_e32 v1, 2, v4
	v_cmp_gt_i32_e64 s[6:7], s36, v1
	v_add_u32_e32 v2, s37, v2
	s_and_b64 s[10:11], s[6:7], vcc
	s_and_saveexec_b64 s[8:9], s[10:11]
	s_cbranch_execnz .LBB2_90
; %bb.78:
	s_or_b64 exec, exec, s[8:9]
	s_and_b64 s[10:11], s[6:7], s[0:1]
	s_and_saveexec_b64 s[8:9], s[10:11]
	s_cbranch_execnz .LBB2_91
.LBB2_79:
	s_or_b64 exec, exec, s[8:9]
	s_and_b64 s[10:11], s[6:7], s[2:3]
	s_and_saveexec_b64 s[8:9], s[10:11]
	s_cbranch_execnz .LBB2_92
.LBB2_80:
	s_or_b64 exec, exec, s[8:9]
	s_and_b64 s[8:9], s[6:7], s[4:5]
	s_and_saveexec_b64 s[6:7], s[8:9]
	s_cbranch_execz .LBB2_82
.LBB2_81:
	v_ashrrev_i32_e32 v3, 31, v2
	v_ashrrev_i32_e32 v1, 31, v0
	v_lshl_add_u64 v[6:7], v[0:1], 0, v[2:3]
	v_lshl_add_u64 v[6:7], v[6:7], 2, s[44:45]
	global_store_dword v[6:7], v19, off offset:12
.LBB2_82:
	s_or_b64 exec, exec, s[6:7]
	v_or_b32_e32 v1, 3, v4
	v_cmp_gt_i32_e64 s[6:7], s36, v1
	v_add_u32_e32 v2, s37, v2
	s_and_b64 s[10:11], s[6:7], vcc
	s_and_saveexec_b64 s[8:9], s[10:11]
	s_cbranch_execnz .LBB2_93
; %bb.83:
	s_or_b64 exec, exec, s[8:9]
	s_and_b64 s[8:9], s[6:7], s[0:1]
	s_and_saveexec_b64 s[0:1], s[8:9]
	s_cbranch_execnz .LBB2_94
.LBB2_84:
	s_or_b64 exec, exec, s[0:1]
	s_and_b64 s[2:3], s[6:7], s[2:3]
	s_and_saveexec_b64 s[0:1], s[2:3]
	s_cbranch_execnz .LBB2_95
.LBB2_85:
	s_or_b64 exec, exec, s[0:1]
	s_and_b64 s[0:1], s[6:7], s[4:5]
	s_and_saveexec_b64 s[2:3], s[0:1]
	s_cbranch_execnz .LBB2_96
.LBB2_86:
	s_endpgm
.LBB2_87:
	v_add_u32_e32 v6, v0, v2
	v_ashrrev_i32_e32 v7, 31, v6
	v_lshl_add_u64 v[6:7], v[6:7], 2, s[44:45]
	global_store_dword v[6:7], v36, off
	s_or_b64 exec, exec, s[8:9]
	s_and_b64 s[10:11], s[6:7], s[0:1]
	s_and_saveexec_b64 s[8:9], s[10:11]
	s_cbranch_execz .LBB2_74
.LBB2_88:
	v_ashrrev_i32_e32 v3, 31, v2
	v_ashrrev_i32_e32 v1, 31, v0
	v_lshl_add_u64 v[6:7], v[0:1], 0, v[2:3]
	v_lshl_add_u64 v[6:7], v[6:7], 2, s[44:45]
	global_store_dword v[6:7], v37, off offset:4
	s_or_b64 exec, exec, s[8:9]
	s_and_b64 s[10:11], s[6:7], s[2:3]
	s_and_saveexec_b64 s[8:9], s[10:11]
	s_cbranch_execz .LBB2_75
.LBB2_89:
	v_ashrrev_i32_e32 v3, 31, v2
	v_ashrrev_i32_e32 v1, 31, v0
	v_lshl_add_u64 v[6:7], v[0:1], 0, v[2:3]
	v_lshl_add_u64 v[6:7], v[6:7], 2, s[44:45]
	global_store_dword v[6:7], v32, off offset:8
	s_or_b64 exec, exec, s[8:9]
	s_and_b64 s[8:9], s[6:7], s[4:5]
	s_and_saveexec_b64 s[6:7], s[8:9]
	s_cbranch_execnz .LBB2_76
	s_branch .LBB2_77
.LBB2_90:
	v_add_u32_e32 v6, v0, v2
	v_ashrrev_i32_e32 v7, 31, v6
	v_lshl_add_u64 v[6:7], v[6:7], 2, s[44:45]
	global_store_dword v[6:7], v34, off
	s_or_b64 exec, exec, s[8:9]
	s_and_b64 s[10:11], s[6:7], s[0:1]
	s_and_saveexec_b64 s[8:9], s[10:11]
	s_cbranch_execz .LBB2_79
.LBB2_91:
	v_ashrrev_i32_e32 v3, 31, v2
	v_ashrrev_i32_e32 v1, 31, v0
	v_lshl_add_u64 v[6:7], v[0:1], 0, v[2:3]
	v_lshl_add_u64 v[6:7], v[6:7], 2, s[44:45]
	global_store_dword v[6:7], v35, off offset:4
	s_or_b64 exec, exec, s[8:9]
	s_and_b64 s[10:11], s[6:7], s[2:3]
	s_and_saveexec_b64 s[8:9], s[10:11]
	s_cbranch_execz .LBB2_80
.LBB2_92:
	v_ashrrev_i32_e32 v3, 31, v2
	v_ashrrev_i32_e32 v1, 31, v0
	v_lshl_add_u64 v[6:7], v[0:1], 0, v[2:3]
	v_lshl_add_u64 v[6:7], v[6:7], 2, s[44:45]
	global_store_dword v[6:7], v18, off offset:8
	s_or_b64 exec, exec, s[8:9]
	s_and_b64 s[8:9], s[6:7], s[4:5]
	s_and_saveexec_b64 s[6:7], s[8:9]
	s_cbranch_execnz .LBB2_81
	s_branch .LBB2_82
.LBB2_93:
	v_add_u32_e32 v4, v0, v2
	v_ashrrev_i32_e32 v5, 31, v4
	v_lshl_add_u64 v[4:5], v[4:5], 2, s[44:45]
	global_store_dword v[4:5], v20, off
	s_or_b64 exec, exec, s[8:9]
	s_and_b64 s[8:9], s[6:7], s[0:1]
	s_and_saveexec_b64 s[0:1], s[8:9]
	s_cbranch_execz .LBB2_84
.LBB2_94:
	v_ashrrev_i32_e32 v3, 31, v2
	v_ashrrev_i32_e32 v1, 31, v0
	v_lshl_add_u64 v[4:5], v[0:1], 0, v[2:3]
	v_lshl_add_u64 v[4:5], v[4:5], 2, s[44:45]
	global_store_dword v[4:5], v21, off offset:4
	s_or_b64 exec, exec, s[0:1]
	s_and_b64 s[2:3], s[6:7], s[2:3]
	s_and_saveexec_b64 s[0:1], s[2:3]
	s_cbranch_execz .LBB2_85
.LBB2_95:
	v_ashrrev_i32_e32 v3, 31, v2
	v_ashrrev_i32_e32 v1, 31, v0
	v_lshl_add_u64 v[4:5], v[0:1], 0, v[2:3]
	v_lshl_add_u64 v[4:5], v[4:5], 2, s[44:45]
	global_store_dword v[4:5], v16, off offset:8
	s_or_b64 exec, exec, s[0:1]
	s_and_b64 s[0:1], s[6:7], s[4:5]
	s_and_saveexec_b64 s[2:3], s[0:1]
	s_cbranch_execz .LBB2_86
.LBB2_96:
	v_ashrrev_i32_e32 v3, 31, v2
	v_ashrrev_i32_e32 v1, 31, v0
	v_lshl_add_u64 v[0:1], v[0:1], 0, v[2:3]
	v_lshl_add_u64 v[0:1], v[0:1], 2, s[44:45]
	global_store_dword v[0:1], v17, off offset:12
	s_endpgm
	.section	.rodata,"a",@progbits
	.p2align	6, 0x0
	.amdhsa_kernel _Z31matrix_multiply_register_tilingPfS_S_iii
		.amdhsa_group_segment_fixed_size 12288
		.amdhsa_private_segment_fixed_size 0
		.amdhsa_kernarg_size 296
		.amdhsa_user_sgpr_count 2
		.amdhsa_user_sgpr_dispatch_ptr 0
		.amdhsa_user_sgpr_queue_ptr 0
		.amdhsa_user_sgpr_kernarg_segment_ptr 1
		.amdhsa_user_sgpr_dispatch_id 0
		.amdhsa_user_sgpr_kernarg_preload_length 0
		.amdhsa_user_sgpr_kernarg_preload_offset 0
		.amdhsa_user_sgpr_private_segment_size 0
		.amdhsa_uses_dynamic_stack 0
		.amdhsa_enable_private_segment 0
		.amdhsa_system_sgpr_workgroup_id_x 1
		.amdhsa_system_sgpr_workgroup_id_y 1
		.amdhsa_system_sgpr_workgroup_id_z 0
		.amdhsa_system_sgpr_workgroup_info 0
		.amdhsa_system_vgpr_workitem_id 1
		.amdhsa_next_free_vgpr 102
		.amdhsa_next_free_sgpr 53
		.amdhsa_accum_offset 104
		.amdhsa_reserve_vcc 1
		.amdhsa_float_round_mode_32 0
		.amdhsa_float_round_mode_16_64 0
		.amdhsa_float_denorm_mode_32 3
		.amdhsa_float_denorm_mode_16_64 3
		.amdhsa_dx10_clamp 1
		.amdhsa_ieee_mode 1
		.amdhsa_fp16_overflow 0
		.amdhsa_tg_split 0
		.amdhsa_exception_fp_ieee_invalid_op 0
		.amdhsa_exception_fp_denorm_src 0
		.amdhsa_exception_fp_ieee_div_zero 0
		.amdhsa_exception_fp_ieee_overflow 0
		.amdhsa_exception_fp_ieee_underflow 0
		.amdhsa_exception_fp_ieee_inexact 0
		.amdhsa_exception_int_div_zero 0
	.end_amdhsa_kernel
	.text
.Lfunc_end2:
	.size	_Z31matrix_multiply_register_tilingPfS_S_iii, .Lfunc_end2-_Z31matrix_multiply_register_tilingPfS_S_iii
                                        ; -- End function
	.set _Z31matrix_multiply_register_tilingPfS_S_iii.num_vgpr, 102
	.set _Z31matrix_multiply_register_tilingPfS_S_iii.num_agpr, 0
	.set _Z31matrix_multiply_register_tilingPfS_S_iii.numbered_sgpr, 53
	.set _Z31matrix_multiply_register_tilingPfS_S_iii.num_named_barrier, 0
	.set _Z31matrix_multiply_register_tilingPfS_S_iii.private_seg_size, 0
	.set _Z31matrix_multiply_register_tilingPfS_S_iii.uses_vcc, 1
	.set _Z31matrix_multiply_register_tilingPfS_S_iii.uses_flat_scratch, 0
	.set _Z31matrix_multiply_register_tilingPfS_S_iii.has_dyn_sized_stack, 0
	.set _Z31matrix_multiply_register_tilingPfS_S_iii.has_recursion, 0
	.set _Z31matrix_multiply_register_tilingPfS_S_iii.has_indirect_call, 0
	.section	.AMDGPU.csdata,"",@progbits
; Kernel info:
; codeLenInByte = 4176
; TotalNumSgprs: 59
; NumVgprs: 102
; NumAgprs: 0
; TotalNumVgprs: 102
; ScratchSize: 0
; MemoryBound: 0
; FloatMode: 240
; IeeeMode: 1
; LDSByteSize: 12288 bytes/workgroup (compile time only)
; SGPRBlocks: 7
; VGPRBlocks: 12
; NumSGPRsForWavesPerEU: 59
; NumVGPRsForWavesPerEU: 102
; AccumOffset: 104
; Occupancy: 4
; WaveLimiterHint : 0
; COMPUTE_PGM_RSRC2:SCRATCH_EN: 0
; COMPUTE_PGM_RSRC2:USER_SGPR: 2
; COMPUTE_PGM_RSRC2:TRAP_HANDLER: 0
; COMPUTE_PGM_RSRC2:TGID_X_EN: 1
; COMPUTE_PGM_RSRC2:TGID_Y_EN: 1
; COMPUTE_PGM_RSRC2:TGID_Z_EN: 0
; COMPUTE_PGM_RSRC2:TIDIG_COMP_CNT: 1
; COMPUTE_PGM_RSRC3_GFX90A:ACCUM_OFFSET: 25
; COMPUTE_PGM_RSRC3_GFX90A:TG_SPLIT: 0
	.text
	.p2alignl 6, 3212836864
	.fill 256, 4, 3212836864
	.section	.AMDGPU.gpr_maximums,"",@progbits
	.set amdgpu.max_num_vgpr, 0
	.set amdgpu.max_num_agpr, 0
	.set amdgpu.max_num_sgpr, 0
	.text
	.type	__hip_cuid_26ad64763217e917,@object ; @__hip_cuid_26ad64763217e917
	.section	.bss,"aw",@nobits
	.globl	__hip_cuid_26ad64763217e917
__hip_cuid_26ad64763217e917:
	.byte	0                               ; 0x0
	.size	__hip_cuid_26ad64763217e917, 1

	.ident	"AMD clang version 22.0.0git (https://github.com/RadeonOpenCompute/llvm-project roc-7.2.4 26084 f58b06dce1f9c15707c5f808fd002e18c2accf7e)"
	.section	".note.GNU-stack","",@progbits
	.addrsig
	.addrsig_sym __hip_cuid_26ad64763217e917
	.amdgpu_metadata
---
amdhsa.kernels:
  - .agpr_count:     0
    .args:
      - .address_space:  global
        .offset:         0
        .size:           8
        .value_kind:     global_buffer
      - .address_space:  global
        .offset:         8
        .size:           8
        .value_kind:     global_buffer
      - .address_space:  global
        .offset:         16
        .size:           8
        .value_kind:     global_buffer
      - .offset:         24
        .size:           4
        .value_kind:     by_value
      - .offset:         28
        .size:           4
        .value_kind:     by_value
      - .offset:         32
        .size:           4
        .value_kind:     by_value
      - .offset:         40
        .size:           4
        .value_kind:     hidden_block_count_x
      - .offset:         44
        .size:           4
        .value_kind:     hidden_block_count_y
      - .offset:         48
        .size:           4
        .value_kind:     hidden_block_count_z
      - .offset:         52
        .size:           2
        .value_kind:     hidden_group_size_x
      - .offset:         54
        .size:           2
        .value_kind:     hidden_group_size_y
      - .offset:         56
        .size:           2
        .value_kind:     hidden_group_size_z
      - .offset:         58
        .size:           2
        .value_kind:     hidden_remainder_x
      - .offset:         60
        .size:           2
        .value_kind:     hidden_remainder_y
      - .offset:         62
        .size:           2
        .value_kind:     hidden_remainder_z
      - .offset:         80
        .size:           8
        .value_kind:     hidden_global_offset_x
      - .offset:         88
        .size:           8
        .value_kind:     hidden_global_offset_y
      - .offset:         96
        .size:           8
        .value_kind:     hidden_global_offset_z
      - .offset:         104
        .size:           2
        .value_kind:     hidden_grid_dims
    .group_segment_fixed_size: 0
    .kernarg_segment_align: 8
    .kernarg_segment_size: 296
    .language:       OpenCL C
    .language_version:
      - 2
      - 0
    .max_flat_workgroup_size: 1024
    .name:           _Z21matrix_multiply_naivePfS_S_iii
    .private_segment_fixed_size: 0
    .sgpr_count:     18
    .sgpr_spill_count: 0
    .symbol:         _Z21matrix_multiply_naivePfS_S_iii.kd
    .uniform_work_group_size: 1
    .uses_dynamic_stack: false
    .vgpr_count:     10
    .vgpr_spill_count: 0
    .wavefront_size: 64
  - .agpr_count:     0
    .args:
      - .address_space:  global
        .offset:         0
        .size:           8
        .value_kind:     global_buffer
      - .address_space:  global
        .offset:         8
        .size:           8
        .value_kind:     global_buffer
      - .address_space:  global
        .offset:         16
        .size:           8
        .value_kind:     global_buffer
      - .offset:         24
        .size:           4
        .value_kind:     by_value
      - .offset:         28
        .size:           4
        .value_kind:     by_value
      - .offset:         32
        .size:           4
        .value_kind:     by_value
    .group_segment_fixed_size: 2048
    .kernarg_segment_align: 8
    .kernarg_segment_size: 36
    .language:       OpenCL C
    .language_version:
      - 2
      - 0
    .max_flat_workgroup_size: 1024
    .name:           _Z26matrix_multiply_lds_tilingPfS_S_iii
    .private_segment_fixed_size: 0
    .sgpr_count:     24
    .sgpr_spill_count: 0
    .symbol:         _Z26matrix_multiply_lds_tilingPfS_S_iii.kd
    .uniform_work_group_size: 1
    .uses_dynamic_stack: false
    .vgpr_count:     34
    .vgpr_spill_count: 0
    .wavefront_size: 64
  - .agpr_count:     0
    .args:
      - .address_space:  global
        .offset:         0
        .size:           8
        .value_kind:     global_buffer
      - .address_space:  global
        .offset:         8
        .size:           8
        .value_kind:     global_buffer
      - .address_space:  global
        .offset:         16
        .size:           8
        .value_kind:     global_buffer
      - .offset:         24
        .size:           4
        .value_kind:     by_value
      - .offset:         28
        .size:           4
        .value_kind:     by_value
      - .offset:         32
        .size:           4
        .value_kind:     by_value
      - .offset:         40
        .size:           4
        .value_kind:     hidden_block_count_x
      - .offset:         44
        .size:           4
        .value_kind:     hidden_block_count_y
      - .offset:         48
        .size:           4
        .value_kind:     hidden_block_count_z
      - .offset:         52
        .size:           2
        .value_kind:     hidden_group_size_x
      - .offset:         54
        .size:           2
        .value_kind:     hidden_group_size_y
      - .offset:         56
        .size:           2
        .value_kind:     hidden_group_size_z
      - .offset:         58
        .size:           2
        .value_kind:     hidden_remainder_x
      - .offset:         60
        .size:           2
        .value_kind:     hidden_remainder_y
      - .offset:         62
        .size:           2
        .value_kind:     hidden_remainder_z
      - .offset:         80
        .size:           8
        .value_kind:     hidden_global_offset_x
      - .offset:         88
        .size:           8
        .value_kind:     hidden_global_offset_y
      - .offset:         96
        .size:           8
        .value_kind:     hidden_global_offset_z
      - .offset:         104
        .size:           2
        .value_kind:     hidden_grid_dims
    .group_segment_fixed_size: 12288
    .kernarg_segment_align: 8
    .kernarg_segment_size: 296
    .language:       OpenCL C
    .language_version:
      - 2
      - 0
    .max_flat_workgroup_size: 1024
    .name:           _Z31matrix_multiply_register_tilingPfS_S_iii
    .private_segment_fixed_size: 0
    .sgpr_count:     59
    .sgpr_spill_count: 0
    .symbol:         _Z31matrix_multiply_register_tilingPfS_S_iii.kd
    .uniform_work_group_size: 1
    .uses_dynamic_stack: false
    .vgpr_count:     102
    .vgpr_spill_count: 0
    .wavefront_size: 64
amdhsa.target:   amdgcn-amd-amdhsa--gfx950
amdhsa.version:
  - 1
  - 2
...

	.end_amdgpu_metadata
